;; amdgpu-corpus repo=ROCm/hip-tests kind=compiled arch=gfx1250 opt=O3
	.amdgcn_target "amdgcn-amd-amdhsa--gfx1250"
	.amdhsa_code_object_version 6
	.text
	.protected	_Z12write_kernelP8d_uint16mS_ ; -- Begin function _Z12write_kernelP8d_uint16mS_
	.globl	_Z12write_kernelP8d_uint16mS_
	.p2align	8
	.type	_Z12write_kernelP8d_uint16mS_,@function
_Z12write_kernelP8d_uint16mS_:          ; @_Z12write_kernelP8d_uint16mS_
; %bb.0:
	s_clause 0x1
	s_load_b32 s2, s[0:1], 0x5c
	s_load_b128 s[4:7], s[0:1], 0x0
	s_bfe_u32 s3, ttmp6, 0x4000c
	s_and_b32 s8, ttmp6, 15
	s_add_co_i32 s3, s3, 1
	s_getreg_b32 s9, hwreg(HW_REG_IB_STS2, 6, 4)
	s_mul_i32 s3, ttmp9, s3
	v_mov_b32_e32 v17, 0
	s_add_co_i32 s8, s8, s3
	s_wait_kmcnt 0x0
	s_and_b32 s2, s2, 0xffff
	s_cmp_eq_u32 s9, 0
	s_cselect_b32 s3, ttmp9, s8
	s_mov_b32 s8, exec_lo
	v_mad_u32 v16, s3, s2, v0
	s_mov_b32 s3, 0
	s_delay_alu instid0(VALU_DEP_1)
	v_cmpx_gt_u64_e64 s[6:7], v[16:17]
	s_cbranch_execz .LBB0_3
; %bb.1:
	s_add_nc_u64 s[24:25], s[0:1], 0x50
	s_add_nc_u64 s[0:1], s[0:1], 16
	s_load_b32 s26, s[24:25], 0x0
	s_clause 0x1
	s_load_b256 s[8:15], s[0:1], 0x0
	s_load_b256 s[16:23], s[0:1], 0x20
	v_lshlrev_b64_e32 v[0:1], 6, v[16:17]
	s_delay_alu instid0(VALU_DEP_1)
	v_add_nc_u64_e32 v[18:19], s[4:5], v[0:1]
	s_mov_b32 s4, s3
	s_wait_kmcnt 0x0
	s_mul_i32 s2, s26, s2
	v_mov_b64_e32 v[0:1], s[8:9]
	v_mov_b64_e32 v[4:5], s[12:13]
	;; [unrolled: 1-line block ×8, first 2 shown]
	s_lshl_b64 s[0:1], s[2:3], 6
.LBB0_2:                                ; =>This Inner Loop Header: Depth=1
	v_add_nc_u64_e32 v[16:17], s[2:3], v[16:17]
	s_clause 0x3
	global_store_b128 v[18:19], v[0:3], off
	global_store_b128 v[18:19], v[4:7], off offset:16
	global_store_b128 v[18:19], v[8:11], off offset:32
	;; [unrolled: 1-line block ×3, first 2 shown]
	s_wait_xcnt 0x0
	v_add_nc_u64_e32 v[18:19], s[0:1], v[18:19]
	v_cmp_le_u64_e32 vcc_lo, s[6:7], v[16:17]
	s_or_b32 s4, vcc_lo, s4
	s_delay_alu instid0(SALU_CYCLE_1)
	s_and_not1_b32 exec_lo, exec_lo, s4
	s_cbranch_execnz .LBB0_2
.LBB0_3:
	s_endpgm
	.section	.rodata,"a",@progbits
	.p2align	6, 0x0
	.amdhsa_kernel _Z12write_kernelP8d_uint16mS_
		.amdhsa_group_segment_fixed_size 0
		.amdhsa_private_segment_fixed_size 0
		.amdhsa_kernarg_size 336
		.amdhsa_user_sgpr_count 2
		.amdhsa_user_sgpr_dispatch_ptr 0
		.amdhsa_user_sgpr_queue_ptr 0
		.amdhsa_user_sgpr_kernarg_segment_ptr 1
		.amdhsa_user_sgpr_dispatch_id 0
		.amdhsa_user_sgpr_kernarg_preload_length 0
		.amdhsa_user_sgpr_kernarg_preload_offset 0
		.amdhsa_user_sgpr_private_segment_size 0
		.amdhsa_wavefront_size32 1
		.amdhsa_uses_dynamic_stack 0
		.amdhsa_enable_private_segment 0
		.amdhsa_system_sgpr_workgroup_id_x 1
		.amdhsa_system_sgpr_workgroup_id_y 0
		.amdhsa_system_sgpr_workgroup_id_z 0
		.amdhsa_system_sgpr_workgroup_info 0
		.amdhsa_system_vgpr_workitem_id 0
		.amdhsa_next_free_vgpr 20
		.amdhsa_next_free_sgpr 27
		.amdhsa_named_barrier_count 0
		.amdhsa_reserve_vcc 1
		.amdhsa_float_round_mode_32 0
		.amdhsa_float_round_mode_16_64 0
		.amdhsa_float_denorm_mode_32 3
		.amdhsa_float_denorm_mode_16_64 3
		.amdhsa_fp16_overflow 0
		.amdhsa_memory_ordered 1
		.amdhsa_forward_progress 1
		.amdhsa_inst_pref_size 3
		.amdhsa_round_robin_scheduling 0
		.amdhsa_exception_fp_ieee_invalid_op 0
		.amdhsa_exception_fp_denorm_src 0
		.amdhsa_exception_fp_ieee_div_zero 0
		.amdhsa_exception_fp_ieee_overflow 0
		.amdhsa_exception_fp_ieee_underflow 0
		.amdhsa_exception_fp_ieee_inexact 0
		.amdhsa_exception_int_div_zero 0
	.end_amdhsa_kernel
	.text
.Lfunc_end0:
	.size	_Z12write_kernelP8d_uint16mS_, .Lfunc_end0-_Z12write_kernelP8d_uint16mS_
                                        ; -- End function
	.set _Z12write_kernelP8d_uint16mS_.num_vgpr, 20
	.set _Z12write_kernelP8d_uint16mS_.num_agpr, 0
	.set _Z12write_kernelP8d_uint16mS_.numbered_sgpr, 27
	.set _Z12write_kernelP8d_uint16mS_.num_named_barrier, 0
	.set _Z12write_kernelP8d_uint16mS_.private_seg_size, 0
	.set _Z12write_kernelP8d_uint16mS_.uses_vcc, 1
	.set _Z12write_kernelP8d_uint16mS_.uses_flat_scratch, 0
	.set _Z12write_kernelP8d_uint16mS_.has_dyn_sized_stack, 0
	.set _Z12write_kernelP8d_uint16mS_.has_recursion, 0
	.set _Z12write_kernelP8d_uint16mS_.has_indirect_call, 0
	.section	.AMDGPU.csdata,"",@progbits
; Kernel info:
; codeLenInByte = 292
; TotalNumSgprs: 29
; NumVgprs: 20
; ScratchSize: 0
; MemoryBound: 0
; FloatMode: 240
; IeeeMode: 1
; LDSByteSize: 0 bytes/workgroup (compile time only)
; SGPRBlocks: 0
; VGPRBlocks: 1
; NumSGPRsForWavesPerEU: 29
; NumVGPRsForWavesPerEU: 20
; NamedBarCnt: 0
; Occupancy: 16
; WaveLimiterHint : 0
; COMPUTE_PGM_RSRC2:SCRATCH_EN: 0
; COMPUTE_PGM_RSRC2:USER_SGPR: 2
; COMPUTE_PGM_RSRC2:TRAP_HANDLER: 0
; COMPUTE_PGM_RSRC2:TGID_X_EN: 1
; COMPUTE_PGM_RSRC2:TGID_Y_EN: 0
; COMPUTE_PGM_RSRC2:TGID_Z_EN: 0
; COMPUTE_PGM_RSRC2:TIDIG_COMP_CNT: 0
	.text
	.p2alignl 7, 3214868480
	.fill 96, 4, 3214868480
	.section	.AMDGPU.gpr_maximums,"",@progbits
	.set amdgpu.max_num_vgpr, 0
	.set amdgpu.max_num_agpr, 0
	.set amdgpu.max_num_sgpr, 0
	.text
	.type	__hip_cuid_babb780e9817a8a6,@object ; @__hip_cuid_babb780e9817a8a6
	.section	.bss,"aw",@nobits
	.globl	__hip_cuid_babb780e9817a8a6
__hip_cuid_babb780e9817a8a6:
	.byte	0                               ; 0x0
	.size	__hip_cuid_babb780e9817a8a6, 1

	.ident	"AMD clang version 22.0.0git (https://github.com/RadeonOpenCompute/llvm-project roc-7.2.4 26084 f58b06dce1f9c15707c5f808fd002e18c2accf7e)"
	.section	".note.GNU-stack","",@progbits
	.addrsig
	.addrsig_sym __hip_cuid_babb780e9817a8a6
	.amdgpu_metadata
---
amdhsa.kernels:
  - .args:
      - .address_space:  global
        .offset:         0
        .size:           8
        .value_kind:     global_buffer
      - .offset:         8
        .size:           8
        .value_kind:     by_value
      - .offset:         16
        .size:           64
        .value_kind:     by_value
      - .offset:         80
        .size:           4
        .value_kind:     hidden_block_count_x
      - .offset:         84
        .size:           4
        .value_kind:     hidden_block_count_y
      - .offset:         88
        .size:           4
        .value_kind:     hidden_block_count_z
      - .offset:         92
        .size:           2
        .value_kind:     hidden_group_size_x
      - .offset:         94
        .size:           2
        .value_kind:     hidden_group_size_y
      - .offset:         96
        .size:           2
        .value_kind:     hidden_group_size_z
      - .offset:         98
        .size:           2
        .value_kind:     hidden_remainder_x
      - .offset:         100
        .size:           2
        .value_kind:     hidden_remainder_y
      - .offset:         102
        .size:           2
        .value_kind:     hidden_remainder_z
      - .offset:         120
        .size:           8
        .value_kind:     hidden_global_offset_x
      - .offset:         128
        .size:           8
        .value_kind:     hidden_global_offset_y
      - .offset:         136
        .size:           8
        .value_kind:     hidden_global_offset_z
      - .offset:         144
        .size:           2
        .value_kind:     hidden_grid_dims
    .group_segment_fixed_size: 0
    .kernarg_segment_align: 8
    .kernarg_segment_size: 336
    .language:       OpenCL C
    .language_version:
      - 2
      - 0
    .max_flat_workgroup_size: 1024
    .name:           _Z12write_kernelP8d_uint16mS_
    .private_segment_fixed_size: 0
    .sgpr_count:     29
    .sgpr_spill_count: 0
    .symbol:         _Z12write_kernelP8d_uint16mS_.kd
    .uniform_work_group_size: 1
    .uses_dynamic_stack: false
    .vgpr_count:     20
    .vgpr_spill_count: 0
    .wavefront_size: 32
amdhsa.target:   amdgcn-amd-amdhsa--gfx1250
amdhsa.version:
  - 1
  - 2
...

	.end_amdgpu_metadata
